;; amdgpu-corpus repo=ROCm/rocFFT kind=compiled arch=gfx906 opt=O3
	.text
	.amdgcn_target "amdgcn-amd-amdhsa--gfx906"
	.amdhsa_code_object_version 6
	.protected	fft_rtc_fwd_len2400_factors_4_10_10_6_wgs_240_tpt_240_halfLds_half_ip_CI_unitstride_sbrr_R2C_dirReg ; -- Begin function fft_rtc_fwd_len2400_factors_4_10_10_6_wgs_240_tpt_240_halfLds_half_ip_CI_unitstride_sbrr_R2C_dirReg
	.globl	fft_rtc_fwd_len2400_factors_4_10_10_6_wgs_240_tpt_240_halfLds_half_ip_CI_unitstride_sbrr_R2C_dirReg
	.p2align	8
	.type	fft_rtc_fwd_len2400_factors_4_10_10_6_wgs_240_tpt_240_halfLds_half_ip_CI_unitstride_sbrr_R2C_dirReg,@function
fft_rtc_fwd_len2400_factors_4_10_10_6_wgs_240_tpt_240_halfLds_half_ip_CI_unitstride_sbrr_R2C_dirReg: ; @fft_rtc_fwd_len2400_factors_4_10_10_6_wgs_240_tpt_240_halfLds_half_ip_CI_unitstride_sbrr_R2C_dirReg
; %bb.0:
	s_load_dwordx2 s[2:3], s[4:5], 0x50
	s_load_dwordx4 s[8:11], s[4:5], 0x0
	s_load_dwordx2 s[12:13], s[4:5], 0x18
	v_mul_u32_u24_e32 v1, 0x112, v0
	v_add_u32_sdwa v5, s6, v1 dst_sel:DWORD dst_unused:UNUSED_PAD src0_sel:DWORD src1_sel:WORD_1
	v_mov_b32_e32 v3, 0
	s_waitcnt lgkmcnt(0)
	v_cmp_lt_u64_e64 s[0:1], s[10:11], 2
	v_mov_b32_e32 v1, 0
	v_mov_b32_e32 v6, v3
	s_and_b64 vcc, exec, s[0:1]
	v_mov_b32_e32 v2, 0
	s_cbranch_vccnz .LBB0_8
; %bb.1:
	s_load_dwordx2 s[0:1], s[4:5], 0x10
	s_add_u32 s6, s12, 8
	s_addc_u32 s7, s13, 0
	v_mov_b32_e32 v1, 0
	v_mov_b32_e32 v2, 0
	s_waitcnt lgkmcnt(0)
	s_add_u32 s14, s0, 8
	s_addc_u32 s15, s1, 0
	s_mov_b64 s[16:17], 1
.LBB0_2:                                ; =>This Inner Loop Header: Depth=1
	s_load_dwordx2 s[18:19], s[14:15], 0x0
                                        ; implicit-def: $vgpr7_vgpr8
	s_waitcnt lgkmcnt(0)
	v_or_b32_e32 v4, s19, v6
	v_cmp_ne_u64_e32 vcc, 0, v[3:4]
	s_and_saveexec_b64 s[0:1], vcc
	s_xor_b64 s[20:21], exec, s[0:1]
	s_cbranch_execz .LBB0_4
; %bb.3:                                ;   in Loop: Header=BB0_2 Depth=1
	v_cvt_f32_u32_e32 v4, s18
	v_cvt_f32_u32_e32 v7, s19
	s_sub_u32 s0, 0, s18
	s_subb_u32 s1, 0, s19
	v_mac_f32_e32 v4, 0x4f800000, v7
	v_rcp_f32_e32 v4, v4
	v_mul_f32_e32 v4, 0x5f7ffffc, v4
	v_mul_f32_e32 v7, 0x2f800000, v4
	v_trunc_f32_e32 v7, v7
	v_mac_f32_e32 v4, 0xcf800000, v7
	v_cvt_u32_f32_e32 v7, v7
	v_cvt_u32_f32_e32 v4, v4
	v_mul_lo_u32 v8, s0, v7
	v_mul_hi_u32 v9, s0, v4
	v_mul_lo_u32 v11, s1, v4
	v_mul_lo_u32 v10, s0, v4
	v_add_u32_e32 v8, v9, v8
	v_add_u32_e32 v8, v8, v11
	v_mul_hi_u32 v9, v4, v10
	v_mul_lo_u32 v11, v4, v8
	v_mul_hi_u32 v13, v4, v8
	v_mul_hi_u32 v12, v7, v10
	v_mul_lo_u32 v10, v7, v10
	v_mul_hi_u32 v14, v7, v8
	v_add_co_u32_e32 v9, vcc, v9, v11
	v_addc_co_u32_e32 v11, vcc, 0, v13, vcc
	v_mul_lo_u32 v8, v7, v8
	v_add_co_u32_e32 v9, vcc, v9, v10
	v_addc_co_u32_e32 v9, vcc, v11, v12, vcc
	v_addc_co_u32_e32 v10, vcc, 0, v14, vcc
	v_add_co_u32_e32 v8, vcc, v9, v8
	v_addc_co_u32_e32 v9, vcc, 0, v10, vcc
	v_add_co_u32_e32 v4, vcc, v4, v8
	v_addc_co_u32_e32 v7, vcc, v7, v9, vcc
	v_mul_lo_u32 v8, s0, v7
	v_mul_hi_u32 v9, s0, v4
	v_mul_lo_u32 v10, s1, v4
	v_mul_lo_u32 v11, s0, v4
	v_add_u32_e32 v8, v9, v8
	v_add_u32_e32 v8, v8, v10
	v_mul_lo_u32 v12, v4, v8
	v_mul_hi_u32 v13, v4, v11
	v_mul_hi_u32 v14, v4, v8
	;; [unrolled: 1-line block ×3, first 2 shown]
	v_mul_lo_u32 v11, v7, v11
	v_mul_hi_u32 v9, v7, v8
	v_add_co_u32_e32 v12, vcc, v13, v12
	v_addc_co_u32_e32 v13, vcc, 0, v14, vcc
	v_mul_lo_u32 v8, v7, v8
	v_add_co_u32_e32 v11, vcc, v12, v11
	v_addc_co_u32_e32 v10, vcc, v13, v10, vcc
	v_addc_co_u32_e32 v9, vcc, 0, v9, vcc
	v_add_co_u32_e32 v8, vcc, v10, v8
	v_addc_co_u32_e32 v9, vcc, 0, v9, vcc
	v_add_co_u32_e32 v4, vcc, v4, v8
	v_addc_co_u32_e32 v9, vcc, v7, v9, vcc
	v_mad_u64_u32 v[7:8], s[0:1], v5, v9, 0
	v_mul_hi_u32 v10, v5, v4
	v_add_co_u32_e32 v11, vcc, v10, v7
	v_addc_co_u32_e32 v12, vcc, 0, v8, vcc
	v_mad_u64_u32 v[7:8], s[0:1], v6, v4, 0
	v_mad_u64_u32 v[9:10], s[0:1], v6, v9, 0
	v_add_co_u32_e32 v4, vcc, v11, v7
	v_addc_co_u32_e32 v4, vcc, v12, v8, vcc
	v_addc_co_u32_e32 v7, vcc, 0, v10, vcc
	v_add_co_u32_e32 v4, vcc, v4, v9
	v_addc_co_u32_e32 v9, vcc, 0, v7, vcc
	v_mul_lo_u32 v10, s19, v4
	v_mul_lo_u32 v11, s18, v9
	v_mad_u64_u32 v[7:8], s[0:1], s18, v4, 0
	v_add3_u32 v8, v8, v11, v10
	v_sub_u32_e32 v10, v6, v8
	v_mov_b32_e32 v11, s19
	v_sub_co_u32_e32 v7, vcc, v5, v7
	v_subb_co_u32_e64 v10, s[0:1], v10, v11, vcc
	v_subrev_co_u32_e64 v11, s[0:1], s18, v7
	v_subbrev_co_u32_e64 v10, s[0:1], 0, v10, s[0:1]
	v_cmp_le_u32_e64 s[0:1], s19, v10
	v_cndmask_b32_e64 v12, 0, -1, s[0:1]
	v_cmp_le_u32_e64 s[0:1], s18, v11
	v_cndmask_b32_e64 v11, 0, -1, s[0:1]
	v_cmp_eq_u32_e64 s[0:1], s19, v10
	v_cndmask_b32_e64 v10, v12, v11, s[0:1]
	v_add_co_u32_e64 v11, s[0:1], 2, v4
	v_addc_co_u32_e64 v12, s[0:1], 0, v9, s[0:1]
	v_add_co_u32_e64 v13, s[0:1], 1, v4
	v_addc_co_u32_e64 v14, s[0:1], 0, v9, s[0:1]
	v_subb_co_u32_e32 v8, vcc, v6, v8, vcc
	v_cmp_ne_u32_e64 s[0:1], 0, v10
	v_cmp_le_u32_e32 vcc, s19, v8
	v_cndmask_b32_e64 v10, v14, v12, s[0:1]
	v_cndmask_b32_e64 v12, 0, -1, vcc
	v_cmp_le_u32_e32 vcc, s18, v7
	v_cndmask_b32_e64 v7, 0, -1, vcc
	v_cmp_eq_u32_e32 vcc, s19, v8
	v_cndmask_b32_e32 v7, v12, v7, vcc
	v_cmp_ne_u32_e32 vcc, 0, v7
	v_cndmask_b32_e64 v7, v13, v11, s[0:1]
	v_cndmask_b32_e32 v8, v9, v10, vcc
	v_cndmask_b32_e32 v7, v4, v7, vcc
.LBB0_4:                                ;   in Loop: Header=BB0_2 Depth=1
	s_andn2_saveexec_b64 s[0:1], s[20:21]
	s_cbranch_execz .LBB0_6
; %bb.5:                                ;   in Loop: Header=BB0_2 Depth=1
	v_cvt_f32_u32_e32 v4, s18
	s_sub_i32 s20, 0, s18
	v_rcp_iflag_f32_e32 v4, v4
	v_mul_f32_e32 v4, 0x4f7ffffe, v4
	v_cvt_u32_f32_e32 v4, v4
	v_mul_lo_u32 v7, s20, v4
	v_mul_hi_u32 v7, v4, v7
	v_add_u32_e32 v4, v4, v7
	v_mul_hi_u32 v4, v5, v4
	v_mul_lo_u32 v7, v4, s18
	v_add_u32_e32 v8, 1, v4
	v_sub_u32_e32 v7, v5, v7
	v_subrev_u32_e32 v9, s18, v7
	v_cmp_le_u32_e32 vcc, s18, v7
	v_cndmask_b32_e32 v7, v7, v9, vcc
	v_cndmask_b32_e32 v4, v4, v8, vcc
	v_add_u32_e32 v8, 1, v4
	v_cmp_le_u32_e32 vcc, s18, v7
	v_cndmask_b32_e32 v7, v4, v8, vcc
	v_mov_b32_e32 v8, v3
.LBB0_6:                                ;   in Loop: Header=BB0_2 Depth=1
	s_or_b64 exec, exec, s[0:1]
	v_mul_lo_u32 v4, v8, s18
	v_mul_lo_u32 v11, v7, s19
	v_mad_u64_u32 v[9:10], s[0:1], v7, s18, 0
	s_load_dwordx2 s[0:1], s[6:7], 0x0
	s_add_u32 s16, s16, 1
	v_add3_u32 v4, v10, v11, v4
	v_sub_co_u32_e32 v5, vcc, v5, v9
	v_subb_co_u32_e32 v4, vcc, v6, v4, vcc
	s_waitcnt lgkmcnt(0)
	v_mul_lo_u32 v4, s0, v4
	v_mul_lo_u32 v6, s1, v5
	v_mad_u64_u32 v[1:2], s[0:1], s0, v5, v[1:2]
	s_addc_u32 s17, s17, 0
	s_add_u32 s6, s6, 8
	v_add3_u32 v2, v6, v2, v4
	v_mov_b32_e32 v4, s10
	v_mov_b32_e32 v5, s11
	s_addc_u32 s7, s7, 0
	v_cmp_ge_u64_e32 vcc, s[16:17], v[4:5]
	s_add_u32 s14, s14, 8
	s_addc_u32 s15, s15, 0
	s_cbranch_vccnz .LBB0_9
; %bb.7:                                ;   in Loop: Header=BB0_2 Depth=1
	v_mov_b32_e32 v5, v7
	v_mov_b32_e32 v6, v8
	s_branch .LBB0_2
.LBB0_8:
	v_mov_b32_e32 v8, v6
	v_mov_b32_e32 v7, v5
.LBB0_9:
	s_lshl_b64 s[0:1], s[10:11], 3
	s_add_u32 s0, s12, s0
	s_addc_u32 s1, s13, s1
	s_load_dwordx2 s[6:7], s[0:1], 0x0
	s_load_dwordx2 s[10:11], s[4:5], 0x20
                                        ; implicit-def: $vgpr10
	s_waitcnt lgkmcnt(0)
	v_mad_u64_u32 v[1:2], s[0:1], s6, v7, v[1:2]
	s_mov_b32 s0, 0x1111112
	v_mul_lo_u32 v3, s6, v8
	v_mul_lo_u32 v4, s7, v7
	v_mul_hi_u32 v5, v0, s0
	v_cmp_gt_u64_e64 s[0:1], s[10:11], v[7:8]
	v_cmp_le_u64_e32 vcc, s[10:11], v[7:8]
	v_add3_u32 v2, v4, v2, v3
	v_mul_u32_u24_e32 v3, 0xf0, v5
	v_sub_u32_e32 v4, v0, v3
                                        ; implicit-def: $vgpr8
	s_and_saveexec_b64 s[4:5], vcc
	s_xor_b64 s[4:5], exec, s[4:5]
; %bb.10:
	v_add_u32_e32 v8, 0xf0, v4
	v_add_u32_e32 v10, 0x1e0, v4
; %bb.11:
	s_or_saveexec_b64 s[4:5], s[4:5]
	v_lshlrev_b64 v[6:7], 2, v[1:2]
	v_lshl_add_u32 v12, v4, 2, 0
	s_xor_b64 exec, exec, s[4:5]
	s_cbranch_execz .LBB0_13
; %bb.12:
	v_mov_b32_e32 v5, 0
	v_mov_b32_e32 v0, s3
	v_add_co_u32_e32 v2, vcc, s2, v6
	v_addc_co_u32_e32 v3, vcc, v0, v7, vcc
	v_lshlrev_b64 v[0:1], 2, v[4:5]
	s_movk_i32 s6, 0x1000
	v_add_co_u32_e32 v0, vcc, v2, v0
	v_addc_co_u32_e32 v1, vcc, v3, v1, vcc
	v_add_co_u32_e32 v2, vcc, s6, v0
	v_addc_co_u32_e32 v3, vcc, 0, v1, vcc
	global_load_dword v5, v[0:1], off
	global_load_dword v9, v[0:1], off offset:960
	global_load_dword v11, v[0:1], off offset:1920
	;; [unrolled: 1-line block ×7, first 2 shown]
	v_add_co_u32_e32 v0, vcc, 0x2000, v0
	v_addc_co_u32_e32 v1, vcc, 0, v1, vcc
	global_load_dword v18, v[2:3], off offset:3584
	global_load_dword v19, v[0:1], off offset:448
	v_add_u32_e32 v0, 0x780, v12
	v_add_u32_e32 v8, 0xf0, v4
	;; [unrolled: 1-line block ×5, first 2 shown]
	s_waitcnt vmcnt(8)
	ds_write2_b32 v12, v5, v9 offset1:240
	s_waitcnt vmcnt(6)
	ds_write2_b32 v0, v11, v13 offset1:240
	;; [unrolled: 2-line block ×4, first 2 shown]
	v_add_u32_e32 v0, 0x1e00, v12
	s_waitcnt vmcnt(0)
	ds_write2_b32 v0, v18, v19 offset1:240
.LBB0_13:
	s_or_b64 exec, exec, s[4:5]
	v_add_u32_e32 v0, 0x600, v12
	v_add_u32_e32 v9, 0x12c0, v12
	s_waitcnt lgkmcnt(0)
	s_barrier
	ds_read2_b32 v[0:1], v0 offset0:96 offset1:216
	v_add_u32_e32 v5, 0x1a00, v12
	ds_read2_b32 v[2:3], v12 offset1:240
	ds_read2_b32 v[13:14], v9 offset1:240
	ds_read2_b32 v[15:16], v5 offset0:16 offset1:136
	v_add_u32_e32 v5, 0xd00, v12
	s_movk_i32 s4, 0x77
	v_cmp_lt_u32_e32 vcc, s4, v4
	s_waitcnt lgkmcnt(1)
	v_pk_add_f16 v9, v2, v13 neg_lo:[0,1] neg_hi:[0,1]
	s_waitcnt lgkmcnt(0)
	v_pk_add_f16 v11, v1, v16 neg_lo:[0,1] neg_hi:[0,1]
	v_alignbit_b32 v13, s0, v11, 16
	v_pk_add_f16 v13, v9, v13 neg_lo:[0,1] neg_hi:[0,1]
	v_alignbit_b32 v17, s0, v9, 16
	v_pk_fma_f16 v2, v2, 2.0, v9 op_sel_hi:[1,0,1] neg_lo:[0,0,1] neg_hi:[0,0,1]
	v_pk_fma_f16 v1, v1, 2.0, v11 op_sel_hi:[1,0,1] neg_lo:[0,0,1] neg_hi:[0,0,1]
	v_lshrrev_b32_e32 v16, 16, v9
	v_pk_add_f16 v20, v17, v11
	v_fma_f16 v17, v9, 2.0, -v13
	v_pk_add_f16 v9, v2, v1 neg_lo:[0,1] neg_hi:[0,1]
	v_fma_f16 v16, v16, 2.0, -v20
	v_pk_fma_f16 v1, v2, 2.0, v9 op_sel_hi:[1,0,1] neg_lo:[0,0,1] neg_hi:[0,0,1]
	v_add_u32_e32 v2, 0x1fc0, v12
	v_pack_b32_f16 v21, v17, v16
	ds_read2_b32 v[16:17], v5 offset0:8 offset1:248
	ds_read2_b32 v[18:19], v2 offset0:8 offset1:248
	v_mad_u32_u24 v11, v4, 12, v12
	s_waitcnt lgkmcnt(0)
	s_barrier
	ds_write2_b32 v11, v1, v21 offset1:1
	v_pk_add_f16 v1, v0, v15 neg_lo:[0,1] neg_hi:[0,1]
	v_pk_add_f16 v15, v17, v19 neg_lo:[0,1] neg_hi:[0,1]
	;; [unrolled: 1-line block ×3, first 2 shown]
	v_pk_fma_f16 v2, v17, 2.0, v15 op_sel_hi:[1,0,1] neg_lo:[0,0,1] neg_hi:[0,0,1]
	v_pk_fma_f16 v17, v3, 2.0, v19 op_sel_hi:[1,0,1] neg_lo:[0,0,1] neg_hi:[0,0,1]
	v_pk_add_f16 v5, v1, v15 op_sel:[0,1] op_sel_hi:[1,0] neg_lo:[0,1] neg_hi:[0,1]
	v_pk_add_f16 v3, v1, v15 op_sel:[0,1] op_sel_hi:[1,0]
	v_pk_add_f16 v15, v16, v18 neg_lo:[0,1] neg_hi:[0,1]
	v_alignbit_b32 v18, s0, v19, 16
	v_pk_fma_f16 v16, v16, 2.0, v15 op_sel_hi:[1,0,1] neg_lo:[0,0,1] neg_hi:[0,0,1]
	v_pk_add_f16 v18, v18, v15
	v_alignbit_b32 v15, s0, v15, 16
	v_pk_add_f16 v15, v19, v15 neg_lo:[0,1] neg_hi:[0,1]
	v_pack_b32_f16 v13, v13, v20
	v_lshrrev_b32_e32 v20, 16, v19
	v_pk_add_f16 v16, v17, v16 neg_lo:[0,1] neg_hi:[0,1]
	v_fma_f16 v19, v19, 2.0, -v15
	v_fma_f16 v20, v20, 2.0, -v18
	v_lshl_add_u32 v14, v8, 4, 0
	v_pk_fma_f16 v17, v17, 2.0, v16 op_sel_hi:[1,0,1] neg_lo:[0,0,1] neg_hi:[0,0,1]
	ds_write2_b32 v11, v9, v13 offset0:2 offset1:3
	v_pack_b32_f16 v9, v19, v20
	ds_write2_b32 v14, v17, v9 offset1:1
	v_pack_b32_f16 v9, v15, v18
	v_pk_fma_f16 v0, v0, 2.0, v1 op_sel_hi:[1,0,1] neg_lo:[0,0,1] neg_hi:[0,0,1]
	ds_write2_b32 v14, v16, v9 offset0:2 offset1:3
	v_lshrrev_b32_e32 v9, 16, v3
	s_and_saveexec_b64 s[4:5], vcc
	s_xor_b64 s[4:5], exec, s[4:5]
; %bb.14:
                                        ; implicit-def: $vgpr3
                                        ; implicit-def: $vgpr1
; %bb.15:
	s_or_saveexec_b64 s[4:5], s[4:5]
	v_pk_add_f16 v11, v0, v2 neg_lo:[0,1] neg_hi:[0,1]
	s_xor_b64 exec, exec, s[4:5]
	s_cbranch_execz .LBB0_17
; %bb.16:
	s_mov_b32 s6, 0xffff
	v_bfi_b32 v3, s6, v5, v3
	v_lshl_add_u32 v2, v10, 4, 0
	v_pk_fma_f16 v0, v0, 2.0, v11 op_sel_hi:[1,0,1] neg_lo:[0,0,1] neg_hi:[0,0,1]
	v_pk_fma_f16 v1, v1, 2.0, v3 op_sel_hi:[1,0,1] neg_lo:[0,0,1] neg_hi:[0,0,1]
	ds_write2_b32 v2, v0, v1 offset1:1
	ds_write2_b32 v2, v11, v3 offset0:2 offset1:3
.LBB0_17:
	s_or_b64 exec, exec, s[4:5]
	v_and_b32_e32 v19, 3, v4
	v_mul_u32_u24_e32 v0, 9, v19
	v_lshlrev_b32_e32 v13, 2, v0
	s_waitcnt lgkmcnt(0)
	s_barrier
	global_load_dwordx4 v[0:3], v13, s[8:9]
	global_load_dwordx4 v[20:23], v13, s[8:9] offset:16
	global_load_dword v30, v13, s[8:9] offset:32
	v_mad_i32_i24 v17, v8, -12, v14
	v_lshl_add_u32 v13, v10, 2, 0
	v_add_u32_e32 v18, 0xb40, v12
	v_add_u32_e32 v16, 0x12c0, v12
	;; [unrolled: 1-line block ×3, first 2 shown]
	ds_read_b32 v31, v12 offset:8640
	ds_read_b32 v32, v12
	ds_read_b32 v33, v17
	;; [unrolled: 1-line block ×3, first 2 shown]
	ds_read2_b32 v[24:25], v18 offset1:240
	ds_read2_b32 v[26:27], v16 offset1:240
	;; [unrolled: 1-line block ×3, first 2 shown]
	s_waitcnt lgkmcnt(6)
	v_lshrrev_b32_e32 v35, 16, v31
	s_waitcnt lgkmcnt(3)
	v_lshrrev_b32_e32 v37, 16, v34
	;; [unrolled: 2-line block ×3, first 2 shown]
	v_lshrrev_b32_e32 v39, 16, v25
	s_waitcnt lgkmcnt(1)
	v_lshrrev_b32_e32 v40, 16, v26
	v_lshrrev_b32_e32 v41, 16, v27
	s_waitcnt lgkmcnt(0)
	v_lshrrev_b32_e32 v42, 16, v28
	v_lshrrev_b32_e32 v43, 16, v29
	v_lshrrev_b32_e32 v36, 16, v33
	s_mov_b32 s7, 0xbb9c
	s_movk_i32 s6, 0x3b9c
	s_mov_b32 s5, 0xb8b4
	s_movk_i32 s4, 0x38b4
	s_movk_i32 s10, 0x34f2
	;; [unrolled: 1-line block ×3, first 2 shown]
	s_waitcnt vmcnt(0)
	s_barrier
	s_movk_i32 s12, 0xcd
	v_mul_f16_sdwa v46, v1, v37 dst_sel:DWORD dst_unused:UNUSED_PAD src0_sel:WORD_1 src1_sel:DWORD
	v_mul_f16_sdwa v47, v1, v34 dst_sel:DWORD dst_unused:UNUSED_PAD src0_sel:WORD_1 src1_sel:DWORD
	;; [unrolled: 1-line block ×7, first 2 shown]
	v_mul_f16_sdwa v53, v41, v21 dst_sel:DWORD dst_unused:UNUSED_PAD src0_sel:DWORD src1_sel:WORD_1
	v_mul_f16_sdwa v54, v20, v26 dst_sel:DWORD dst_unused:UNUSED_PAD src0_sel:WORD_1 src1_sel:DWORD
	v_mul_f16_sdwa v55, v27, v21 dst_sel:DWORD dst_unused:UNUSED_PAD src0_sel:DWORD src1_sel:WORD_1
	v_mul_f16_sdwa v56, v42, v22 dst_sel:DWORD dst_unused:UNUSED_PAD src0_sel:DWORD src1_sel:WORD_1
	;; [unrolled: 1-line block ×7, first 2 shown]
	v_mul_f16_sdwa v44, v0, v36 dst_sel:DWORD dst_unused:UNUSED_PAD src0_sel:WORD_1 src1_sel:DWORD
	v_mul_f16_sdwa v45, v0, v33 dst_sel:DWORD dst_unused:UNUSED_PAD src0_sel:WORD_1 src1_sel:DWORD
	v_fma_f16 v34, v1, v34, -v46
	v_fma_f16 v1, v1, v37, v47
	v_fma_f16 v24, v2, v24, -v48
	v_fma_f16 v2, v2, v38, v49
	;; [unrolled: 2-line block ×3, first 2 shown]
	v_fma_f16 v26, v20, v26, -v52
	v_fma_f16 v27, v27, v21, -v53
	;; [unrolled: 1-line block ×4, first 2 shown]
	v_fma_f16 v20, v20, v40, v54
	v_fma_f16 v21, v41, v21, v55
	;; [unrolled: 1-line block ×4, first 2 shown]
	v_fma_f16 v31, v31, v30, -v60
	v_fma_f16 v30, v35, v30, v61
	v_fma_f16 v33, v0, v33, -v44
	v_fma_f16 v0, v0, v36, v45
	v_sub_f16_e32 v35, v34, v25
	v_sub_f16_e32 v36, v29, v27
	;; [unrolled: 1-line block ×6, first 2 shown]
	v_add_f16_e32 v35, v35, v36
	v_add_f16_e32 v36, v37, v38
	;; [unrolled: 1-line block ×4, first 2 shown]
	v_sub_f16_e32 v39, v24, v26
	v_sub_f16_e32 v40, v31, v28
	v_add_f16_e32 v43, v26, v28
	v_fma_f16 v41, v41, -0.5, v0
	v_sub_f16_e32 v42, v24, v31
	v_sub_f16_e32 v44, v2, v30
	v_add_f16_e32 v37, v39, v40
	v_fma_f16 v39, v43, -0.5, v33
	v_fma_f16 v43, v42, s7, v41
	v_sub_f16_e32 v46, v26, v28
	v_sub_f16_e32 v45, v20, v22
	v_fma_f16 v40, v44, s6, v39
	v_fma_f16 v43, v46, s5, v43
	v_fma_f16 v40, v45, s4, v40
	v_fma_f16 v43, v38, s10, v43
	v_fma_f16 v40, v37, s10, v40
	v_mul_f16_e32 v47, 0x38b4, v43
	v_fma_f16 v47, v40, s11, v47
	v_mul_f16_e32 v40, 0xb8b4, v40
	v_fma_f16 v40, v43, s11, v40
	v_lshrrev_b32_e32 v43, 2, v4
	v_mul_u32_u24_e32 v43, 40, v43
	v_lshrrev_b32_e32 v48, 16, v32
	v_or_b32_e32 v19, v43, v19
	v_add_f16_e32 v43, v32, v34
	v_add_f16_e32 v49, v48, v1
	;; [unrolled: 1-line block ×18, first 2 shown]
	v_pack_b32_f16 v52, v52, v53
	v_add_f16_e32 v53, v25, v27
	v_add_f16_e32 v57, v3, v21
	v_fma_f16 v53, v53, -0.5, v32
	v_sub_f16_e32 v54, v1, v23
	v_fma_f16 v57, v57, -0.5, v48
	v_sub_f16_e32 v58, v34, v29
	v_fma_f16 v55, v54, s6, v53
	v_sub_f16_e32 v56, v3, v21
	v_fma_f16 v59, v58, s7, v57
	;; [unrolled: 2-line block ×3, first 2 shown]
	v_fma_f16 v59, v60, s5, v59
	v_fma_f16 v55, v35, s10, v55
	;; [unrolled: 1-line block ×3, first 2 shown]
	v_add_f16_e32 v61, v55, v47
	v_add_f16_e32 v62, v59, v40
	v_pack_b32_f16 v61, v61, v62
	v_lshl_add_u32 v19, v19, 2, 0
	ds_write2_b32 v19, v52, v61 offset1:4
	v_fma_f16 v52, v54, s7, v53
	v_fma_f16 v52, v56, s5, v52
	;; [unrolled: 1-line block ×3, first 2 shown]
	v_add_f16_e32 v52, v34, v29
	v_fma_f16 v32, v52, -0.5, v32
	v_sub_f16_e32 v25, v25, v34
	v_sub_f16_e32 v27, v27, v29
	v_add_f16_e32 v25, v25, v27
	v_fma_f16 v27, v56, s7, v32
	v_fma_f16 v29, v56, s6, v32
	v_add_f16_e32 v32, v1, v23
	v_sub_f16_e32 v1, v3, v1
	v_sub_f16_e32 v3, v21, v23
	v_add_f16_e32 v23, v24, v31
	v_fma_f16 v23, v23, -0.5, v33
	v_sub_f16_e32 v24, v26, v24
	v_sub_f16_e32 v26, v28, v31
	v_add_f16_e32 v28, v2, v30
	v_fma_f16 v32, v32, -0.5, v48
	v_add_f16_e32 v24, v24, v26
	v_fma_f16 v26, v45, s7, v23
	v_fma_f16 v0, v28, -0.5, v0
	v_sub_f16_e32 v2, v20, v2
	v_sub_f16_e32 v20, v22, v30
	v_add_f16_e32 v1, v1, v3
	v_fma_f16 v3, v60, s6, v32
	v_fma_f16 v21, v60, s7, v32
	;; [unrolled: 1-line block ×4, first 2 shown]
	v_add_f16_e32 v2, v2, v20
	v_fma_f16 v20, v46, s6, v0
	v_fma_f16 v3, v58, s5, v3
	v_fma_f16 v21, v58, s4, v21
	v_fma_f16 v23, v44, s5, v23
	v_fma_f16 v26, v24, s10, v26
	v_fma_f16 v0, v46, s7, v0
	v_fma_f16 v20, v42, s5, v20
	v_fma_f16 v3, v1, s10, v3
	v_fma_f16 v1, v1, s10, v21
	v_fma_f16 v21, v44, s7, v39
	v_fma_f16 v23, v24, s10, v23
	v_fma_f16 v0, v42, s4, v0
	v_fma_f16 v20, v2, s10, v20
	v_mul_f16_e32 v22, 0xbb9c, v26
	v_fma_f16 v21, v45, s5, v21
	v_fma_f16 v24, v42, s6, v41
	;; [unrolled: 1-line block ×3, first 2 shown]
	v_mul_f16_e32 v2, 0x3b9c, v20
	v_fma_f16 v20, v20, s10, v22
	v_mul_f16_e32 v22, 0x34f2, v23
	v_fma_f16 v27, v54, s4, v27
	v_fma_f16 v29, v54, s5, v29
	;; [unrolled: 1-line block ×4, first 2 shown]
	v_fma_f16 v22, v0, s6, -v22
	v_mul_f16_e32 v0, 0x34f2, v0
	v_fma_f16 v27, v25, s10, v27
	v_fma_f16 v25, v25, s10, v29
	;; [unrolled: 1-line block ×4, first 2 shown]
	v_fma_f16 v0, v23, s7, -v0
	v_mul_f16_e32 v23, 0x3a79, v21
	v_fma_f16 v29, v60, s4, v29
	v_fma_f16 v2, v26, s10, v2
	v_fma_f16 v23, v24, s4, -v23
	v_mul_f16_e32 v24, 0x3a79, v24
	v_fma_f16 v29, v36, s10, v29
	v_fma_f16 v21, v21, s5, -v24
	v_add_f16_e32 v28, v27, v2
	v_sub_f16_e32 v2, v27, v2
	v_add_f16_e32 v27, v25, v22
	v_add_f16_e32 v32, v3, v20
	v_sub_f16_e32 v3, v3, v20
	v_add_f16_e32 v20, v1, v0
	v_sub_f16_e32 v24, v43, v50
	v_sub_f16_e32 v22, v25, v22
	v_add_f16_e32 v25, v35, v23
	v_sub_f16_e32 v30, v49, v51
	v_sub_f16_e32 v0, v1, v0
	v_add_f16_e32 v1, v29, v21
	v_pack_b32_f16 v28, v28, v32
	v_pack_b32_f16 v20, v27, v20
	v_sub_f16_e32 v26, v55, v47
	v_sub_f16_e32 v31, v59, v40
	ds_write2_b32 v19, v28, v20 offset0:8 offset1:12
	v_pack_b32_f16 v1, v25, v1
	v_pack_b32_f16 v20, v24, v30
	v_sub_f16_e32 v23, v35, v23
	v_sub_f16_e32 v21, v29, v21
	ds_write2_b32 v19, v1, v20 offset0:16 offset1:20
	v_pack_b32_f16 v1, v26, v31
	v_pack_b32_f16 v2, v2, v3
	ds_write2_b32 v19, v1, v2 offset0:24 offset1:28
	v_pack_b32_f16 v0, v22, v0
	v_pack_b32_f16 v1, v23, v21
	ds_write2_b32 v19, v0, v1 offset0:32 offset1:36
	v_mul_lo_u16_sdwa v0, v4, s12 dst_sel:DWORD dst_unused:UNUSED_PAD src0_sel:BYTE_0 src1_sel:DWORD
	v_lshrrev_b16_e32 v1, 13, v0
	v_mul_lo_u16_e32 v0, 40, v1
	v_sub_u16_e32 v2, v4, v0
	v_mov_b32_e32 v0, 9
	v_mul_u32_u24_sdwa v0, v2, v0 dst_sel:DWORD dst_unused:UNUSED_PAD src0_sel:BYTE_0 src1_sel:DWORD
	v_lshlrev_b32_e32 v0, 2, v0
	s_waitcnt lgkmcnt(0)
	s_barrier
	global_load_dwordx4 v[19:22], v0, s[8:9] offset:144
	global_load_dwordx4 v[23:26], v0, s[8:9] offset:160
	global_load_dword v3, v0, s[8:9] offset:176
	ds_read_b32 v0, v17
	ds_read_b32 v27, v13
	ds_read2_b32 v[17:18], v18 offset1:240
	ds_read_b32 v32, v12 offset:8640
	v_mul_u32_u24_e32 v1, 0x640, v1
	s_waitcnt lgkmcnt(3)
	v_lshrrev_b32_e32 v28, 16, v0
	s_waitcnt vmcnt(2)
	v_mul_f16_sdwa v29, v19, v28 dst_sel:DWORD dst_unused:UNUSED_PAD src0_sel:WORD_1 src1_sel:DWORD
	v_fma_f16 v29, v19, v0, -v29
	v_mul_f16_sdwa v0, v19, v0 dst_sel:DWORD dst_unused:UNUSED_PAD src0_sel:WORD_1 src1_sel:DWORD
	v_fma_f16 v0, v19, v28, v0
	s_waitcnt lgkmcnt(2)
	v_lshrrev_b32_e32 v19, 16, v27
	v_mul_f16_sdwa v28, v20, v19 dst_sel:DWORD dst_unused:UNUSED_PAD src0_sel:WORD_1 src1_sel:DWORD
	v_fma_f16 v28, v20, v27, -v28
	v_mul_f16_sdwa v27, v20, v27 dst_sel:DWORD dst_unused:UNUSED_PAD src0_sel:WORD_1 src1_sel:DWORD
	v_fma_f16 v19, v20, v19, v27
	s_waitcnt lgkmcnt(1)
	v_lshrrev_b32_e32 v20, 16, v17
	v_mul_f16_sdwa v27, v21, v20 dst_sel:DWORD dst_unused:UNUSED_PAD src0_sel:WORD_1 src1_sel:DWORD
	v_fma_f16 v27, v21, v17, -v27
	v_mul_f16_sdwa v17, v21, v17 dst_sel:DWORD dst_unused:UNUSED_PAD src0_sel:WORD_1 src1_sel:DWORD
	v_fma_f16 v20, v21, v20, v17
	ds_read2_b32 v[16:17], v16 offset1:240
	v_lshrrev_b32_e32 v21, 16, v18
	v_mul_f16_sdwa v30, v22, v21 dst_sel:DWORD dst_unused:UNUSED_PAD src0_sel:WORD_1 src1_sel:DWORD
	v_fma_f16 v30, v22, v18, -v30
	v_mul_f16_sdwa v18, v22, v18 dst_sel:DWORD dst_unused:UNUSED_PAD src0_sel:WORD_1 src1_sel:DWORD
	v_fma_f16 v18, v22, v21, v18
	s_waitcnt lgkmcnt(0)
	v_lshrrev_b32_e32 v21, 16, v16
	s_waitcnt vmcnt(1)
	v_mul_f16_sdwa v22, v23, v16 dst_sel:DWORD dst_unused:UNUSED_PAD src0_sel:WORD_1 src1_sel:DWORD
	v_fma_f16 v22, v23, v21, v22
	v_mul_f16_sdwa v21, v23, v21 dst_sel:DWORD dst_unused:UNUSED_PAD src0_sel:WORD_1 src1_sel:DWORD
	v_fma_f16 v21, v23, v16, -v21
	ds_read2_b32 v[15:16], v15 offset1:240
	v_lshrrev_b32_e32 v23, 16, v17
	v_mul_f16_sdwa v31, v23, v24 dst_sel:DWORD dst_unused:UNUSED_PAD src0_sel:DWORD src1_sel:WORD_1
	v_fma_f16 v31, v17, v24, -v31
	v_mul_f16_sdwa v17, v17, v24 dst_sel:DWORD dst_unused:UNUSED_PAD src0_sel:DWORD src1_sel:WORD_1
	v_fma_f16 v17, v23, v24, v17
	s_waitcnt lgkmcnt(0)
	v_lshrrev_b32_e32 v23, 16, v15
	v_mul_f16_sdwa v24, v15, v25 dst_sel:DWORD dst_unused:UNUSED_PAD src0_sel:DWORD src1_sel:WORD_1
	v_fma_f16 v24, v23, v25, v24
	v_mul_f16_sdwa v23, v23, v25 dst_sel:DWORD dst_unused:UNUSED_PAD src0_sel:DWORD src1_sel:WORD_1
	v_fma_f16 v15, v15, v25, -v23
	v_lshrrev_b32_e32 v23, 16, v16
	v_mul_f16_sdwa v25, v23, v26 dst_sel:DWORD dst_unused:UNUSED_PAD src0_sel:DWORD src1_sel:WORD_1
	v_fma_f16 v25, v16, v26, -v25
	v_mul_f16_sdwa v16, v16, v26 dst_sel:DWORD dst_unused:UNUSED_PAD src0_sel:DWORD src1_sel:WORD_1
	v_fma_f16 v16, v23, v26, v16
	ds_read_b32 v23, v12
	v_lshrrev_b32_e32 v26, 16, v32
	s_waitcnt vmcnt(0)
	v_mul_f16_sdwa v33, v26, v3 dst_sel:DWORD dst_unused:UNUSED_PAD src0_sel:DWORD src1_sel:WORD_1
	v_fma_f16 v33, v32, v3, -v33
	v_mul_f16_sdwa v32, v32, v3 dst_sel:DWORD dst_unused:UNUSED_PAD src0_sel:DWORD src1_sel:WORD_1
	v_fma_f16 v3, v26, v3, v32
	v_sub_f16_e32 v26, v28, v30
	v_sub_f16_e32 v32, v25, v31
	v_add_f16_e32 v26, v26, v32
	v_add_f16_e32 v32, v30, v31
	s_waitcnt lgkmcnt(0)
	v_fma_f16 v32, v32, -0.5, v23
	v_sub_f16_e32 v34, v19, v16
	v_fma_f16 v35, v34, s6, v32
	v_sub_f16_e32 v36, v18, v17
	v_fma_f16 v32, v34, s7, v32
	v_fma_f16 v35, v36, s4, v35
	v_fma_f16 v32, v36, s5, v32
	v_fma_f16 v35, v26, s10, v35
	v_fma_f16 v26, v26, s10, v32
	v_sub_f16_e32 v32, v30, v28
	v_sub_f16_e32 v37, v31, v25
	v_add_f16_e32 v32, v32, v37
	v_add_f16_e32 v37, v28, v25
	v_fma_f16 v37, v37, -0.5, v23
	v_fma_f16 v38, v36, s7, v37
	v_fma_f16 v36, v36, s6, v37
	;; [unrolled: 1-line block ×6, first 2 shown]
	v_add_f16_e32 v34, v23, v28
	v_add_f16_e32 v34, v34, v30
	;; [unrolled: 1-line block ×4, first 2 shown]
	v_sub_f16_e32 v25, v28, v25
	v_sub_f16_e32 v28, v30, v31
	;; [unrolled: 1-line block ×4, first 2 shown]
	v_add_f16_e32 v30, v30, v31
	v_lshrrev_b32_e32 v23, 16, v23
	v_add_f16_e32 v31, v18, v17
	v_fma_f16 v31, v31, -0.5, v23
	v_fma_f16 v37, v25, s7, v31
	v_fma_f16 v31, v25, s6, v31
	;; [unrolled: 1-line block ×6, first 2 shown]
	v_add_f16_e32 v31, v19, v16
	v_fma_f16 v31, v31, -0.5, v23
	v_add_f16_e32 v23, v23, v19
	v_add_f16_e32 v23, v23, v18
	v_sub_f16_e32 v18, v18, v19
	v_add_f16_e32 v19, v23, v17
	v_add_f16_e32 v19, v19, v16
	v_sub_f16_e32 v16, v17, v16
	v_add_f16_e32 v16, v18, v16
	v_fma_f16 v17, v28, s6, v31
	v_fma_f16 v18, v28, s7, v31
	;; [unrolled: 1-line block ×6, first 2 shown]
	v_sub_f16_e32 v16, v27, v21
	v_sub_f16_e32 v17, v33, v15
	v_add_f16_e32 v16, v16, v17
	v_add_f16_e32 v17, v21, v15
	v_fma_f16 v17, v17, -0.5, v29
	v_sub_f16_e32 v18, v20, v3
	v_fma_f16 v28, v18, s6, v17
	v_sub_f16_e32 v31, v22, v24
	v_fma_f16 v17, v18, s7, v17
	v_fma_f16 v28, v31, s4, v28
	;; [unrolled: 1-line block ×5, first 2 shown]
	v_sub_f16_e32 v17, v21, v27
	v_sub_f16_e32 v38, v15, v33
	v_add_f16_e32 v17, v17, v38
	v_add_f16_e32 v38, v27, v33
	v_fma_f16 v38, v38, -0.5, v29
	v_fma_f16 v39, v31, s7, v38
	v_fma_f16 v31, v31, s6, v38
	;; [unrolled: 1-line block ×6, first 2 shown]
	v_add_f16_e32 v18, v29, v27
	v_add_f16_e32 v18, v18, v21
	;; [unrolled: 1-line block ×3, first 2 shown]
	v_sub_f16_e32 v15, v21, v15
	v_sub_f16_e32 v21, v20, v22
	;; [unrolled: 1-line block ×3, first 2 shown]
	v_add_f16_e32 v21, v21, v29
	v_add_f16_e32 v29, v22, v24
	v_sub_f16_e32 v27, v27, v33
	v_fma_f16 v29, v29, -0.5, v0
	v_add_f16_e32 v18, v18, v33
	v_fma_f16 v33, v27, s7, v29
	v_fma_f16 v29, v27, s6, v29
	;; [unrolled: 1-line block ×6, first 2 shown]
	v_add_f16_e32 v29, v20, v3
	v_fma_f16 v29, v29, -0.5, v0
	v_add_f16_e32 v0, v0, v20
	v_add_f16_e32 v0, v0, v22
	;; [unrolled: 1-line block ×3, first 2 shown]
	v_sub_f16_e32 v20, v22, v20
	v_add_f16_e32 v22, v0, v3
	v_sub_f16_e32 v0, v24, v3
	v_fma_f16 v3, v15, s6, v29
	v_add_f16_e32 v0, v20, v0
	v_fma_f16 v15, v15, s7, v29
	v_fma_f16 v3, v27, s5, v3
	v_fma_f16 v15, v27, s4, v15
	v_fma_f16 v3, v0, s10, v3
	v_mul_f16_e32 v27, 0xbb9c, v31
	v_fma_f16 v0, v0, s10, v15
	v_mul_f16_e32 v24, 0x3b9c, v3
	v_fma_f16 v27, v3, s10, v27
	v_mul_f16_e32 v3, 0x34f2, v17
	v_mul_f16_e32 v15, 0x38b4, v33
	v_fma_f16 v3, v0, s6, -v3
	v_mul_f16_e32 v0, 0x34f2, v0
	v_fma_f16 v15, v28, s11, v15
	v_mul_f16_e32 v20, 0xb8b4, v28
	v_fma_f16 v28, v17, s7, -v0
	v_mul_f16_e32 v0, 0x3a79, v16
	v_fma_f16 v29, v21, s4, -v0
	v_mul_f16_e32 v0, 0x3a79, v21
	v_fma_f16 v20, v33, s11, v20
	v_fma_f16 v24, v31, s10, v24
	v_fma_f16 v21, v16, s5, -v0
	v_add_f16_e32 v31, v34, v18
	v_sub_f16_e32 v33, v34, v18
	v_add_f16_e32 v34, v35, v15
	v_sub_f16_e32 v0, v35, v15
	;; [unrolled: 2-line block ×10, first 2 shown]
	v_mov_b32_e32 v21, 2
	v_lshlrev_b32_sdwa v2, v21, v2 dst_sel:DWORD dst_unused:UNUSED_PAD src0_sel:DWORD src1_sel:BYTE_0
	v_add3_u32 v1, 0, v1, v2
	v_pack_b32_f16 v2, v31, v26
	v_pack_b32_f16 v21, v34, v29
	s_barrier
	ds_write2_b32 v1, v2, v21 offset1:40
	v_pack_b32_f16 v2, v35, v36
	v_pack_b32_f16 v21, v24, v23
	ds_write2_b32 v1, v2, v21 offset0:80 offset1:120
	v_pack_b32_f16 v2, v32, v25
	v_pack_b32_f16 v21, v33, v22
	ds_write2_b32 v1, v2, v21 offset0:160 offset1:200
	v_pack_b32_f16 v2, v0, v3
	v_pack_b32_f16 v21, v16, v18
	v_add_u32_e32 v22, 0x200, v1
	ds_write2_b32 v22, v2, v21 offset0:112 offset1:152
	v_pack_b32_f16 v2, v17, v20
	v_pack_b32_f16 v21, v15, v19
	v_add_u32_e32 v1, 0x400, v1
	ds_write2_b32 v1, v2, v21 offset0:64 offset1:104
	s_waitcnt lgkmcnt(0)
	s_barrier
	ds_read_b32 v1, v12
	ds_read_b32 v25, v12 offset:1600
	ds_read_b32 v24, v12 offset:3200
	;; [unrolled: 1-line block ×5, first 2 shown]
	v_mul_i32_i24_e32 v2, -12, v8
	s_movk_i32 s4, 0xa0
	v_cmp_gt_u32_e32 vcc, s4, v4
	v_add_u32_e32 v2, v14, v2
	s_and_saveexec_b64 s[4:5], vcc
	s_cbranch_execz .LBB0_19
; %bb.18:
	ds_read_b32 v0, v2
	ds_read_b32 v15, v12 offset:5760
	ds_read_b32 v5, v12 offset:8960
	;; [unrolled: 1-line block ×5, first 2 shown]
	s_waitcnt lgkmcnt(5)
	v_lshrrev_b32_e32 v3, 16, v0
	s_waitcnt lgkmcnt(4)
	v_lshrrev_b32_e32 v19, 16, v15
	s_waitcnt lgkmcnt(3)
	v_lshrrev_b32_e32 v9, 16, v5
	s_waitcnt lgkmcnt(2)
	v_lshrrev_b32_e32 v18, 16, v16
	s_waitcnt lgkmcnt(1)
	v_lshrrev_b32_e32 v20, 16, v17
.LBB0_19:
	s_or_b64 exec, exec, s[4:5]
	v_mul_u32_u24_e32 v14, 5, v4
	v_lshlrev_b32_e32 v14, 2, v14
	global_load_dwordx4 v[26:29], v14, s[8:9] offset:1584
	global_load_dword v30, v14, s[8:9] offset:1600
	s_waitcnt lgkmcnt(0)
	v_lshrrev_b32_e32 v31, 16, v21
	v_lshrrev_b32_e32 v32, 16, v22
	;; [unrolled: 1-line block ×6, first 2 shown]
	s_movk_i32 s6, 0x3aee
	s_mov_b32 s7, 0xbaee
	s_waitcnt vmcnt(0)
	s_barrier
	v_mul_f16_sdwa v36, v26, v35 dst_sel:DWORD dst_unused:UNUSED_PAD src0_sel:WORD_1 src1_sel:DWORD
	v_mul_f16_sdwa v37, v26, v25 dst_sel:DWORD dst_unused:UNUSED_PAD src0_sel:WORD_1 src1_sel:DWORD
	;; [unrolled: 1-line block ×10, first 2 shown]
	v_fma_f16 v25, v26, v25, -v36
	v_fma_f16 v26, v26, v35, v37
	v_fma_f16 v24, v27, v24, -v38
	v_fma_f16 v27, v27, v34, v39
	;; [unrolled: 2-line block ×5, first 2 shown]
	v_sub_f16_e32 v33, v27, v29
	v_add_f16_e32 v34, v14, v27
	v_add_f16_e32 v27, v27, v29
	;; [unrolled: 1-line block ×3, first 2 shown]
	v_sub_f16_e32 v37, v28, v30
	v_add_f16_e32 v38, v26, v28
	v_add_f16_e32 v28, v28, v30
	;; [unrolled: 1-line block ×4, first 2 shown]
	v_sub_f16_e32 v24, v24, v22
	v_add_f16_e32 v35, v25, v23
	v_sub_f16_e32 v23, v23, v21
	v_fma_f16 v14, v27, -0.5, v14
	v_fma_f16 v25, v36, -0.5, v25
	;; [unrolled: 1-line block ×3, first 2 shown]
	v_add_f16_e32 v22, v31, v22
	v_fma_f16 v1, v32, -0.5, v1
	v_add_f16_e32 v29, v34, v29
	v_add_f16_e32 v21, v35, v21
	;; [unrolled: 1-line block ×3, first 2 shown]
	v_fma_f16 v30, v24, s7, v14
	v_fma_f16 v14, v24, s6, v14
	;; [unrolled: 1-line block ×8, first 2 shown]
	v_add_f16_e32 v26, v22, v21
	v_add_f16_e32 v32, v29, v27
	v_sub_f16_e32 v21, v22, v21
	v_sub_f16_e32 v22, v29, v27
	v_mul_f16_e32 v27, 0x3aee, v31
	v_mul_f16_e32 v29, -0.5, v25
	v_mul_f16_e32 v33, 0xbaee, v24
	v_mul_f16_e32 v34, -0.5, v23
	v_pack_b32_f16 v26, v26, v32
	v_pack_b32_f16 v21, v21, v22
	v_fma_f16 v22, v24, 0.5, v27
	v_fma_f16 v23, v23, s6, v29
	v_fma_f16 v24, v31, 0.5, v33
	v_fma_f16 v25, v25, s7, v34
	ds_write_b32 v12, v26
	ds_write_b32 v12, v21 offset:4800
	v_add_f16_e32 v21, v28, v22
	v_add_f16_e32 v26, v1, v23
	;; [unrolled: 1-line block ×4, first 2 shown]
	v_sub_f16_e32 v1, v1, v23
	v_sub_f16_e32 v14, v14, v25
	;; [unrolled: 1-line block ×4, first 2 shown]
	v_pack_b32_f16 v21, v21, v27
	v_pack_b32_f16 v1, v1, v14
	;; [unrolled: 1-line block ×4, first 2 shown]
	ds_write_b32 v12, v21 offset:1600
	ds_write_b32 v12, v24 offset:3200
	;; [unrolled: 1-line block ×4, first 2 shown]
	s_and_saveexec_b64 s[4:5], vcc
	s_cbranch_execz .LBB0_21
; %bb.20:
	v_add_u32_e32 v1, 0xffffff60, v4
	v_cndmask_b32_e32 v1, v1, v8, vcc
	v_mul_i32_i24_e32 v21, 5, v1
	v_mov_b32_e32 v22, 0
	v_lshlrev_b64 v[21:22], 2, v[21:22]
	v_mov_b32_e32 v1, s9
	v_add_co_u32_e32 v25, vcc, s8, v21
	v_addc_co_u32_e32 v26, vcc, v1, v22, vcc
	global_load_dwordx4 v[21:24], v[25:26], off offset:1584
	global_load_dword v1, v[25:26], off offset:1600
	v_lshrrev_b32_e32 v14, 16, v11
	s_waitcnt vmcnt(1)
	v_mul_f16_sdwa v30, v19, v23 dst_sel:DWORD dst_unused:UNUSED_PAD src0_sel:DWORD src1_sel:WORD_1
	s_waitcnt vmcnt(0)
	v_mul_f16_sdwa v31, v9, v1 dst_sel:DWORD dst_unused:UNUSED_PAD src0_sel:DWORD src1_sel:WORD_1
	v_mul_f16_sdwa v32, v15, v23 dst_sel:DWORD dst_unused:UNUSED_PAD src0_sel:DWORD src1_sel:WORD_1
	;; [unrolled: 1-line block ×9, first 2 shown]
	v_fma_f16 v15, v15, v23, -v30
	v_fma_f16 v5, v5, v1, -v31
	v_fma_f16 v19, v19, v23, v32
	v_fma_f16 v1, v9, v1, v33
	v_fma_f16 v17, v17, v22, -v25
	v_fma_f16 v11, v11, v24, -v26
	v_fma_f16 v20, v20, v22, v27
	v_fma_f16 v14, v14, v24, v28
	v_fma_f16 v16, v16, v21, -v29
	v_fma_f16 v9, v18, v21, v34
	v_add_f16_e32 v22, v15, v5
	v_add_f16_e32 v25, v19, v1
	v_sub_f16_e32 v18, v17, v11
	v_add_f16_e32 v21, v20, v14
	v_sub_f16_e32 v23, v19, v1
	v_sub_f16_e32 v24, v15, v5
	v_add_f16_e32 v26, v3, v20
	v_add_f16_e32 v19, v9, v19
	;; [unrolled: 1-line block ×5, first 2 shown]
	v_fma_f16 v16, v22, -0.5, v16
	v_fma_f16 v9, v25, -0.5, v9
	v_sub_f16_e32 v20, v20, v14
	v_fma_f16 v3, v21, -0.5, v3
	v_add_f16_e32 v14, v26, v14
	v_add_f16_e32 v1, v19, v1
	v_fma_f16 v0, v27, -0.5, v0
	v_add_f16_e32 v11, v17, v11
	v_add_f16_e32 v5, v15, v5
	v_fma_f16 v17, v23, s7, v16
	v_fma_f16 v19, v24, s6, v9
	;; [unrolled: 1-line block ×6, first 2 shown]
	v_sub_f16_e32 v18, v14, v1
	v_fma_f16 v21, v20, s7, v0
	v_fma_f16 v0, v20, s6, v0
	v_sub_f16_e32 v20, v11, v5
	v_add_f16_e32 v1, v14, v1
	v_add_f16_e32 v5, v11, v5
	v_mul_f16_e32 v14, 0xbaee, v16
	v_mul_f16_e32 v23, 0x3aee, v9
	v_mul_f16_e32 v11, -0.5, v19
	v_mul_f16_e32 v22, -0.5, v17
	v_pack_b32_f16 v1, v5, v1
	v_pack_b32_f16 v5, v20, v18
	v_fma_f16 v9, v9, 0.5, v14
	v_fma_f16 v16, v16, 0.5, v23
	v_fma_f16 v11, v17, s7, v11
	v_fma_f16 v14, v19, s6, v22
	ds_write_b32 v12, v1 offset:960
	ds_write_b32 v12, v5 offset:5760
	v_sub_f16_e32 v5, v3, v9
	v_sub_f16_e32 v18, v0, v16
	v_add_f16_e32 v3, v3, v9
	v_add_f16_e32 v0, v0, v16
	v_sub_f16_e32 v1, v15, v11
	v_sub_f16_e32 v17, v21, v14
	v_add_f16_e32 v11, v15, v11
	v_add_f16_e32 v9, v21, v14
	v_pack_b32_f16 v0, v0, v3
	v_pack_b32_f16 v3, v9, v11
	v_pack_b32_f16 v5, v18, v5
	v_pack_b32_f16 v1, v17, v1
	ds_write_b32 v12, v0 offset:2560
	ds_write_b32 v12, v3 offset:4160
	;; [unrolled: 1-line block ×4, first 2 shown]
.LBB0_21:
	s_or_b64 exec, exec, s[4:5]
	s_waitcnt lgkmcnt(0)
	s_barrier
	ds_read_b32 v9, v12
	s_add_u32 s6, s8, 0x2570
	v_lshlrev_b32_e32 v0, 2, v4
	s_addc_u32 s7, s9, 0
	v_sub_u32_e32 v3, 0, v0
	v_cmp_ne_u32_e32 vcc, 0, v4
                                        ; implicit-def: $vgpr16
                                        ; implicit-def: $vgpr14
                                        ; implicit-def: $vgpr15
                                        ; implicit-def: $vgpr0_vgpr1
	s_and_saveexec_b64 s[4:5], vcc
	s_xor_b64 s[4:5], exec, s[4:5]
	s_cbranch_execz .LBB0_23
; %bb.22:
	v_mov_b32_e32 v5, 0
	v_lshlrev_b64 v[0:1], 2, v[4:5]
	v_mov_b32_e32 v11, s7
	v_add_co_u32_e32 v0, vcc, s6, v0
	v_addc_co_u32_e32 v1, vcc, v11, v1, vcc
	global_load_dword v0, v[0:1], off
	ds_read_b32 v1, v3 offset:9600
	s_mov_b32 s8, 0xffff
	s_waitcnt lgkmcnt(0)
	v_pk_add_f16 v11, v9, v1 neg_lo:[0,1] neg_hi:[0,1]
	v_pk_add_f16 v1, v1, v9
	v_bfi_b32 v9, s8, v11, v1
	v_pk_mul_f16 v9, v9, 0.5 op_sel_hi:[1,0]
	v_bfi_b32 v1, s8, v1, v11
	v_pk_mul_f16 v11, v1, 0.5 op_sel_hi:[1,0]
	s_waitcnt vmcnt(0)
	v_pk_mul_f16 v14, v0, v9 op_sel:[1,0]
	v_pk_mul_f16 v0, v0, v9 op_sel_hi:[0,1]
	v_pk_fma_f16 v1, v1, 0.5, v14 op_sel_hi:[1,0,1]
	v_sub_f16_e32 v9, v11, v14
	v_sub_f16_sdwa v11, v14, v11 dst_sel:DWORD dst_unused:UNUSED_PAD src0_sel:WORD_1 src1_sel:WORD_1
	v_pk_add_f16 v16, v1, v0 op_sel:[0,1] op_sel_hi:[1,0]
	v_pk_add_f16 v1, v1, v0 op_sel:[0,1] op_sel_hi:[1,0] neg_lo:[0,1] neg_hi:[0,1]
	v_sub_f16_sdwa v14, v9, v0 dst_sel:DWORD dst_unused:UNUSED_PAD src0_sel:DWORD src1_sel:WORD_1
	v_sub_f16_e32 v15, v11, v0
	v_bfi_b32 v16, s8, v16, v1
	v_mov_b32_e32 v0, v4
	v_mov_b32_e32 v1, v5
                                        ; implicit-def: $vgpr9
.LBB0_23:
	s_andn2_saveexec_b64 s[4:5], s[4:5]
	s_cbranch_execz .LBB0_25
; %bb.24:
	v_mov_b32_e32 v15, 0
	ds_read_u16 v5, v15 offset:4802
	s_waitcnt lgkmcnt(1)
	v_alignbit_b32 v11, s0, v9, 16
	v_sub_f16_sdwa v14, v9, v9 dst_sel:DWORD dst_unused:UNUSED_PAD src0_sel:DWORD src1_sel:WORD_1
	v_mov_b32_e32 v0, 0
	v_pk_add_f16 v9, v11, v9
	v_mov_b32_e32 v1, 0
	s_waitcnt lgkmcnt(0)
	v_xor_b32_e32 v5, 0x8000, v5
	v_pack_b32_f16 v16, v9, 0
	ds_write_b16 v15, v5 offset:4802
.LBB0_25:
	s_or_b64 exec, exec, s[4:5]
	s_waitcnt lgkmcnt(0)
	v_mov_b32_e32 v9, 0
	v_lshlrev_b64 v[17:18], 2, v[8:9]
	v_mov_b32_e32 v5, s7
	v_add_co_u32_e32 v17, vcc, s6, v17
	v_addc_co_u32_e32 v18, vcc, v5, v18, vcc
	global_load_dword v5, v[17:18], off
	v_mov_b32_e32 v11, v9
	v_lshlrev_b64 v[8:9], 2, v[10:11]
	v_mov_b32_e32 v17, s7
	v_add_co_u32_e32 v8, vcc, s6, v8
	v_addc_co_u32_e32 v9, vcc, v17, v9, vcc
	global_load_dword v10, v[8:9], off
	v_lshlrev_b64 v[0:1], 2, v[0:1]
	v_mov_b32_e32 v9, s7
	v_add_co_u32_e32 v8, vcc, s6, v0
	v_addc_co_u32_e32 v9, vcc, v9, v1, vcc
	global_load_dword v11, v[8:9], off offset:2880
	ds_write_b16 v3, v15 offset:9602
	ds_write_b32 v12, v16
	ds_write_b16 v3, v14 offset:9600
	ds_read_b32 v14, v2
	ds_read_b32 v15, v3 offset:8640
	global_load_dword v8, v[8:9], off offset:3840
	s_mov_b32 s4, 0xffff
	s_waitcnt lgkmcnt(0)
	v_pk_add_f16 v9, v14, v15 neg_lo:[0,1] neg_hi:[0,1]
	v_pk_add_f16 v14, v14, v15
	v_bfi_b32 v15, s4, v9, v14
	v_bfi_b32 v9, s4, v14, v9
	v_pk_mul_f16 v14, v15, 0.5 op_sel_hi:[1,0]
	v_pk_mul_f16 v9, v9, 0.5 op_sel_hi:[1,0]
	s_waitcnt vmcnt(3)
	v_pk_fma_f16 v15, v5, v14, v9 op_sel:[1,0,0]
	v_pk_mul_f16 v16, v5, v14 op_sel_hi:[0,1]
	v_pk_fma_f16 v17, v5, v14, v9 op_sel:[1,0,0] neg_lo:[1,0,0] neg_hi:[1,0,0]
	v_pk_fma_f16 v5, v5, v14, v9 op_sel:[1,0,0] neg_lo:[0,0,1] neg_hi:[0,0,1]
	v_pk_add_f16 v9, v15, v16 op_sel:[0,1] op_sel_hi:[1,0]
	v_pk_add_f16 v14, v15, v16 op_sel:[0,1] op_sel_hi:[1,0] neg_lo:[0,1] neg_hi:[0,1]
	v_pk_add_f16 v15, v17, v16 op_sel:[0,1] op_sel_hi:[1,0] neg_lo:[0,1] neg_hi:[0,1]
	;; [unrolled: 1-line block ×3, first 2 shown]
	v_bfi_b32 v9, s4, v9, v14
	v_bfi_b32 v5, s4, v15, v5
	ds_write_b32 v2, v9
	ds_write_b32 v3, v5 offset:8640
	ds_read_b32 v2, v13
	ds_read_b32 v5, v3 offset:7680
	s_waitcnt lgkmcnt(0)
	v_pk_add_f16 v9, v2, v5 neg_lo:[0,1] neg_hi:[0,1]
	v_pk_add_f16 v2, v2, v5
	v_bfi_b32 v5, s4, v9, v2
	v_bfi_b32 v2, s4, v2, v9
	v_pk_mul_f16 v5, v5, 0.5 op_sel_hi:[1,0]
	v_pk_mul_f16 v2, v2, 0.5 op_sel_hi:[1,0]
	s_waitcnt vmcnt(2)
	v_pk_fma_f16 v9, v10, v5, v2 op_sel:[1,0,0]
	v_pk_mul_f16 v14, v10, v5 op_sel_hi:[0,1]
	v_pk_fma_f16 v15, v10, v5, v2 op_sel:[1,0,0] neg_lo:[1,0,0] neg_hi:[1,0,0]
	v_pk_fma_f16 v2, v10, v5, v2 op_sel:[1,0,0] neg_lo:[0,0,1] neg_hi:[0,0,1]
	v_pk_add_f16 v5, v9, v14 op_sel:[0,1] op_sel_hi:[1,0]
	v_pk_add_f16 v9, v9, v14 op_sel:[0,1] op_sel_hi:[1,0] neg_lo:[0,1] neg_hi:[0,1]
	v_pk_add_f16 v10, v15, v14 op_sel:[0,1] op_sel_hi:[1,0] neg_lo:[0,1] neg_hi:[0,1]
	;; [unrolled: 1-line block ×3, first 2 shown]
	v_bfi_b32 v5, s4, v5, v9
	v_bfi_b32 v2, s4, v10, v2
	ds_write_b32 v13, v5
	ds_write_b32 v3, v2 offset:7680
	ds_read_b32 v2, v12 offset:2880
	ds_read_b32 v5, v3 offset:6720
	s_waitcnt lgkmcnt(0)
	v_pk_add_f16 v9, v2, v5 neg_lo:[0,1] neg_hi:[0,1]
	v_pk_add_f16 v2, v2, v5
	v_bfi_b32 v5, s4, v9, v2
	v_bfi_b32 v2, s4, v2, v9
	v_pk_mul_f16 v5, v5, 0.5 op_sel_hi:[1,0]
	v_pk_mul_f16 v9, v2, 0.5 op_sel_hi:[1,0]
	s_waitcnt vmcnt(1)
	v_pk_mul_f16 v10, v11, v5 op_sel:[1,0]
	v_pk_mul_f16 v5, v11, v5 op_sel_hi:[0,1]
	v_pk_fma_f16 v2, v2, 0.5, v10 op_sel_hi:[1,0,1]
	v_sub_f16_e32 v11, v9, v10
	v_sub_f16_sdwa v9, v10, v9 dst_sel:DWORD dst_unused:UNUSED_PAD src0_sel:WORD_1 src1_sel:WORD_1
	v_pk_add_f16 v10, v2, v5 op_sel:[0,1] op_sel_hi:[1,0]
	v_pk_add_f16 v2, v2, v5 op_sel:[0,1] op_sel_hi:[1,0] neg_lo:[0,1] neg_hi:[0,1]
	v_sub_f16_sdwa v11, v11, v5 dst_sel:DWORD dst_unused:UNUSED_PAD src0_sel:DWORD src1_sel:WORD_1
	v_sub_f16_e32 v5, v9, v5
	v_bfi_b32 v2, s4, v10, v2
	ds_write_b16 v3, v5 offset:6722
	ds_write_b32 v12, v2 offset:2880
	ds_write_b16 v3, v11 offset:6720
	ds_read_b32 v2, v12 offset:3840
	ds_read_b32 v5, v3 offset:5760
	s_waitcnt lgkmcnt(0)
	v_pk_add_f16 v9, v2, v5 neg_lo:[0,1] neg_hi:[0,1]
	v_pk_add_f16 v2, v2, v5
	v_bfi_b32 v5, s4, v9, v2
	v_bfi_b32 v2, s4, v2, v9
	v_pk_mul_f16 v5, v5, 0.5 op_sel_hi:[1,0]
	v_pk_mul_f16 v2, v2, 0.5 op_sel_hi:[1,0]
	s_waitcnt vmcnt(0)
	v_pk_fma_f16 v9, v8, v5, v2 op_sel:[1,0,0]
	v_pk_mul_f16 v10, v8, v5 op_sel_hi:[0,1]
	v_pk_fma_f16 v11, v8, v5, v2 op_sel:[1,0,0] neg_lo:[1,0,0] neg_hi:[1,0,0]
	v_pk_fma_f16 v2, v8, v5, v2 op_sel:[1,0,0] neg_lo:[0,0,1] neg_hi:[0,0,1]
	v_pk_add_f16 v5, v9, v10 op_sel:[0,1] op_sel_hi:[1,0]
	v_pk_add_f16 v8, v9, v10 op_sel:[0,1] op_sel_hi:[1,0] neg_lo:[0,1] neg_hi:[0,1]
	v_pk_add_f16 v9, v11, v10 op_sel:[0,1] op_sel_hi:[1,0] neg_lo:[0,1] neg_hi:[0,1]
	;; [unrolled: 1-line block ×3, first 2 shown]
	v_bfi_b32 v5, s4, v5, v8
	v_bfi_b32 v2, s4, v9, v2
	ds_write_b32 v12, v5 offset:3840
	ds_write_b32 v3, v2 offset:5760
	s_waitcnt lgkmcnt(0)
	s_barrier
	s_and_saveexec_b64 s[4:5], s[0:1]
	s_cbranch_execz .LBB0_28
; %bb.26:
	ds_read2_b32 v[8:9], v12 offset1:240
	v_mov_b32_e32 v2, s3
	v_add_co_u32_e32 v3, vcc, s2, v6
	v_add_u32_e32 v5, 0x780, v12
	v_addc_co_u32_e32 v2, vcc, v2, v7, vcc
	ds_read2_b32 v[5:6], v5 offset1:240
	v_add_co_u32_e32 v0, vcc, v3, v0
	v_add_u32_e32 v7, 0xf00, v12
	v_addc_co_u32_e32 v1, vcc, v2, v1, vcc
	ds_read2_b32 v[10:11], v7 offset1:240
	s_waitcnt lgkmcnt(2)
	global_store_dword v[0:1], v8, off
	global_store_dword v[0:1], v9, off offset:960
	s_waitcnt lgkmcnt(1)
	global_store_dword v[0:1], v5, off offset:1920
	global_store_dword v[0:1], v6, off offset:2880
	s_waitcnt lgkmcnt(0)
	global_store_dword v[0:1], v10, off offset:3840
	s_movk_i32 s0, 0x1000
	v_add_u32_e32 v7, 0x1e00, v12
	v_add_u32_e32 v5, 0x1680, v12
	ds_read2_b32 v[7:8], v7 offset1:240
	v_add_co_u32_e32 v9, vcc, s0, v0
	ds_read2_b32 v[5:6], v5 offset1:240
	v_addc_co_u32_e32 v10, vcc, 0, v1, vcc
	v_add_co_u32_e32 v0, vcc, 0x2000, v0
	v_addc_co_u32_e32 v1, vcc, 0, v1, vcc
	s_movk_i32 s0, 0xef
	v_cmp_eq_u32_e32 vcc, s0, v4
	global_store_dword v[9:10], v11, off offset:704
	s_waitcnt lgkmcnt(0)
	global_store_dword v[9:10], v5, off offset:1664
	global_store_dword v[9:10], v6, off offset:2624
	;; [unrolled: 1-line block ×4, first 2 shown]
	s_and_b64 exec, exec, vcc
	s_cbranch_execz .LBB0_28
; %bb.27:
	v_mov_b32_e32 v0, 0
	ds_read_b32 v4, v0 offset:9600
	v_add_co_u32_e32 v0, vcc, 0x2000, v3
	v_addc_co_u32_e32 v1, vcc, 0, v2, vcc
	s_waitcnt lgkmcnt(0)
	global_store_dword v[0:1], v4, off offset:1408
.LBB0_28:
	s_endpgm
	.section	.rodata,"a",@progbits
	.p2align	6, 0x0
	.amdhsa_kernel fft_rtc_fwd_len2400_factors_4_10_10_6_wgs_240_tpt_240_halfLds_half_ip_CI_unitstride_sbrr_R2C_dirReg
		.amdhsa_group_segment_fixed_size 0
		.amdhsa_private_segment_fixed_size 0
		.amdhsa_kernarg_size 88
		.amdhsa_user_sgpr_count 6
		.amdhsa_user_sgpr_private_segment_buffer 1
		.amdhsa_user_sgpr_dispatch_ptr 0
		.amdhsa_user_sgpr_queue_ptr 0
		.amdhsa_user_sgpr_kernarg_segment_ptr 1
		.amdhsa_user_sgpr_dispatch_id 0
		.amdhsa_user_sgpr_flat_scratch_init 0
		.amdhsa_user_sgpr_private_segment_size 0
		.amdhsa_uses_dynamic_stack 0
		.amdhsa_system_sgpr_private_segment_wavefront_offset 0
		.amdhsa_system_sgpr_workgroup_id_x 1
		.amdhsa_system_sgpr_workgroup_id_y 0
		.amdhsa_system_sgpr_workgroup_id_z 0
		.amdhsa_system_sgpr_workgroup_info 0
		.amdhsa_system_vgpr_workitem_id 0
		.amdhsa_next_free_vgpr 63
		.amdhsa_next_free_sgpr 22
		.amdhsa_reserve_vcc 1
		.amdhsa_reserve_flat_scratch 0
		.amdhsa_float_round_mode_32 0
		.amdhsa_float_round_mode_16_64 0
		.amdhsa_float_denorm_mode_32 3
		.amdhsa_float_denorm_mode_16_64 3
		.amdhsa_dx10_clamp 1
		.amdhsa_ieee_mode 1
		.amdhsa_fp16_overflow 0
		.amdhsa_exception_fp_ieee_invalid_op 0
		.amdhsa_exception_fp_denorm_src 0
		.amdhsa_exception_fp_ieee_div_zero 0
		.amdhsa_exception_fp_ieee_overflow 0
		.amdhsa_exception_fp_ieee_underflow 0
		.amdhsa_exception_fp_ieee_inexact 0
		.amdhsa_exception_int_div_zero 0
	.end_amdhsa_kernel
	.text
.Lfunc_end0:
	.size	fft_rtc_fwd_len2400_factors_4_10_10_6_wgs_240_tpt_240_halfLds_half_ip_CI_unitstride_sbrr_R2C_dirReg, .Lfunc_end0-fft_rtc_fwd_len2400_factors_4_10_10_6_wgs_240_tpt_240_halfLds_half_ip_CI_unitstride_sbrr_R2C_dirReg
                                        ; -- End function
	.section	.AMDGPU.csdata,"",@progbits
; Kernel info:
; codeLenInByte = 7824
; NumSgprs: 26
; NumVgprs: 63
; ScratchSize: 0
; MemoryBound: 0
; FloatMode: 240
; IeeeMode: 1
; LDSByteSize: 0 bytes/workgroup (compile time only)
; SGPRBlocks: 3
; VGPRBlocks: 15
; NumSGPRsForWavesPerEU: 26
; NumVGPRsForWavesPerEU: 63
; Occupancy: 4
; WaveLimiterHint : 1
; COMPUTE_PGM_RSRC2:SCRATCH_EN: 0
; COMPUTE_PGM_RSRC2:USER_SGPR: 6
; COMPUTE_PGM_RSRC2:TRAP_HANDLER: 0
; COMPUTE_PGM_RSRC2:TGID_X_EN: 1
; COMPUTE_PGM_RSRC2:TGID_Y_EN: 0
; COMPUTE_PGM_RSRC2:TGID_Z_EN: 0
; COMPUTE_PGM_RSRC2:TIDIG_COMP_CNT: 0
	.type	__hip_cuid_ef1682fd314161f5,@object ; @__hip_cuid_ef1682fd314161f5
	.section	.bss,"aw",@nobits
	.globl	__hip_cuid_ef1682fd314161f5
__hip_cuid_ef1682fd314161f5:
	.byte	0                               ; 0x0
	.size	__hip_cuid_ef1682fd314161f5, 1

	.ident	"AMD clang version 19.0.0git (https://github.com/RadeonOpenCompute/llvm-project roc-6.4.0 25133 c7fe45cf4b819c5991fe208aaa96edf142730f1d)"
	.section	".note.GNU-stack","",@progbits
	.addrsig
	.addrsig_sym __hip_cuid_ef1682fd314161f5
	.amdgpu_metadata
---
amdhsa.kernels:
  - .args:
      - .actual_access:  read_only
        .address_space:  global
        .offset:         0
        .size:           8
        .value_kind:     global_buffer
      - .offset:         8
        .size:           8
        .value_kind:     by_value
      - .actual_access:  read_only
        .address_space:  global
        .offset:         16
        .size:           8
        .value_kind:     global_buffer
      - .actual_access:  read_only
        .address_space:  global
        .offset:         24
        .size:           8
        .value_kind:     global_buffer
      - .offset:         32
        .size:           8
        .value_kind:     by_value
      - .actual_access:  read_only
        .address_space:  global
        .offset:         40
        .size:           8
        .value_kind:     global_buffer
      - .actual_access:  read_only
        .address_space:  global
        .offset:         48
        .size:           8
        .value_kind:     global_buffer
      - .offset:         56
        .size:           4
        .value_kind:     by_value
      - .actual_access:  read_only
        .address_space:  global
        .offset:         64
        .size:           8
        .value_kind:     global_buffer
      - .actual_access:  read_only
        .address_space:  global
        .offset:         72
        .size:           8
        .value_kind:     global_buffer
      - .address_space:  global
        .offset:         80
        .size:           8
        .value_kind:     global_buffer
    .group_segment_fixed_size: 0
    .kernarg_segment_align: 8
    .kernarg_segment_size: 88
    .language:       OpenCL C
    .language_version:
      - 2
      - 0
    .max_flat_workgroup_size: 240
    .name:           fft_rtc_fwd_len2400_factors_4_10_10_6_wgs_240_tpt_240_halfLds_half_ip_CI_unitstride_sbrr_R2C_dirReg
    .private_segment_fixed_size: 0
    .sgpr_count:     26
    .sgpr_spill_count: 0
    .symbol:         fft_rtc_fwd_len2400_factors_4_10_10_6_wgs_240_tpt_240_halfLds_half_ip_CI_unitstride_sbrr_R2C_dirReg.kd
    .uniform_work_group_size: 1
    .uses_dynamic_stack: false
    .vgpr_count:     63
    .vgpr_spill_count: 0
    .wavefront_size: 64
amdhsa.target:   amdgcn-amd-amdhsa--gfx906
amdhsa.version:
  - 1
  - 2
...

	.end_amdgpu_metadata
